;; amdgpu-corpus repo=ROCm/hipCUB kind=compiled arch=gfx1250 opt=O3
	.amdgcn_target "amdgcn-amd-amdhsa--gfx1250"
	.amdhsa_code_object_version 6
	.section	.text._Z30block_run_length_decode_kernelIiiLj128ELj2ELj4ELj100EEvPKT_PKT0_PS0_b,"axG",@progbits,_Z30block_run_length_decode_kernelIiiLj128ELj2ELj4ELj100EEvPKT_PKT0_PS0_b,comdat
	.protected	_Z30block_run_length_decode_kernelIiiLj128ELj2ELj4ELj100EEvPKT_PKT0_PS0_b ; -- Begin function _Z30block_run_length_decode_kernelIiiLj128ELj2ELj4ELj100EEvPKT_PKT0_PS0_b
	.globl	_Z30block_run_length_decode_kernelIiiLj128ELj2ELj4ELj100EEvPKT_PKT0_PS0_b
	.p2align	8
	.type	_Z30block_run_length_decode_kernelIiiLj128ELj2ELj4ELj100EEvPKT_PKT0_PS0_b,@function
_Z30block_run_length_decode_kernelIiiLj128ELj2ELj4ELj100EEvPKT_PKT0_PS0_b: ; @_Z30block_run_length_decode_kernelIiiLj128ELj2ELj4ELj100EEvPKT_PKT0_PS0_b
; %bb.0:
	s_clause 0x1
	s_load_b96 s[4:6], s[0:1], 0x10
	s_load_b128 s[8:11], s[0:1], 0x0
	s_getreg_b32 s7, hwreg(HW_REG_IB_STS2, 6, 4)
	s_wait_kmcnt 0x0
	s_bitcmp1_b32 s6, 0
	s_cselect_b32 s2, -1, 0
	s_bfe_u32 s3, ttmp6, 0x4000c
	s_and_b32 s6, ttmp6, 15
	s_add_co_i32 s3, s3, 1
	s_delay_alu instid0(SALU_CYCLE_1) | instskip(NEXT) | instid1(SALU_CYCLE_1)
	s_mul_i32 s3, ttmp9, s3
	s_add_co_i32 s6, s6, s3
	s_cmp_eq_u32 s7, 0
	s_cselect_b32 s0, ttmp9, s6
	s_delay_alu instid0(SALU_CYCLE_1) | instskip(SKIP_2) | instid1(SALU_CYCLE_1)
	v_lshl_or_b32 v1, s0, 7, v0
	v_mov_b32_e32 v3, 0
	s_lshl_b32 s0, s0, 8
	s_add_co_i32 s1, s0, 0x100
	s_delay_alu instid0(VALU_DEP_2) | instskip(NEXT) | instid1(VALU_DEP_1)
	v_lshlrev_b32_e32 v2, 1, v1
	v_lshlrev_b64_e32 v[4:5], 2, v[2:3]
	v_lshlrev_b32_e32 v2, 3, v0
	s_delay_alu instid0(VALU_DEP_2)
	v_add_nc_u64_e32 v[6:7], s[8:9], v[4:5]
	v_add_nc_u64_e32 v[4:5], s[10:11], v[4:5]
	global_load_b64 v[8:9], v[6:7], off
	global_load_b64 v[10:11], v[4:5], off
	s_wait_loadcnt 0x0
	ds_store_2addr_stride64_b64 v2, v[8:9], v[10:11] offset1:2
	s_wait_dscnt 0x0
	s_barrier_signal -1
	s_barrier_wait -1
	s_clause 0x1
	s_load_b32 s3, s[10:11], s1 offset:0x0 scale_offset
	s_load_b32 s6, s[10:11], s0 offset:0x0 scale_offset
	ds_load_b32 v8, v3 offset:1536
	v_dual_lshlrev_b32 v2, 2, v1 :: v_dual_lshlrev_b32 v9, 2, v0
	v_mov_b32_e32 v10, 0x80
	s_delay_alu instid0(VALU_DEP_2) | instskip(NEXT) | instid1(VALU_DEP_1)
	v_lshl_add_u64 v[2:3], v[2:3], 2, s[4:5]
	v_add_nc_u64_e32 v[4:5], 8, v[2:3]
	s_wait_kmcnt 0x0
	s_sub_co_i32 s0, s3, s6
	s_mov_b32 s3, 0
	s_cmp_gt_i32 s0, 0
	s_cselect_b32 s1, -1, 0
	s_branch .LBB0_2
.LBB0_1:                                ;   in Loop: Header=BB0_2 Depth=1
	s_add_co_i32 s3, s3, 1
	s_delay_alu instid0(SALU_CYCLE_1)
	s_cmp_eq_u32 s3, 0x64
	s_cbranch_scc1 .LBB0_25
.LBB0_2:                                ; =>This Loop Header: Depth=1
                                        ;     Child Loop BB0_5 Depth 2
	s_and_not1_b32 vcc_lo, exec_lo, s1
	s_cbranch_vccnz .LBB0_1
; %bb.3:                                ;   in Loop: Header=BB0_2 Depth=1
	v_mov_b64_e32 v[6:7], v[4:5]
	s_mov_b32 s4, 0
	s_branch .LBB0_5
.LBB0_4:                                ;   in Loop: Header=BB0_5 Depth=2
	s_wait_xcnt 0x0
	v_add_nc_u64_e32 v[6:7], 0x800, v[6:7]
	s_addk_co_i32 s4, 0x200
	s_delay_alu instid0(SALU_CYCLE_1)
	s_cmp_lt_i32 s4, s0
	s_cbranch_scc0 .LBB0_1
.LBB0_5:                                ;   Parent Loop BB0_2 Depth=1
                                        ; =>  This Inner Loop Header: Depth=2
	s_wait_dscnt 0x0
	v_add_nc_u32_e32 v3, s4, v9
	s_mov_b32 s5, exec_lo
	s_wait_dscnt 0x0
	s_delay_alu instid0(VALU_DEP_1) | instskip(SKIP_2) | instid1(VALU_DEP_2)
	v_cmp_lt_u32_e32 vcc_lo, v3, v8
	v_cndmask_b32_e64 v1, 0xc0, 64, vcc_lo
	v_cndmask_b32_e64 v0, 0x81, 0, vcc_lo
	v_dual_cndmask_b32 v11, 0x100, v10 :: v_dual_lshlrev_b32 v2, 2, v1
	ds_load_b32 v2, v2 offset:1024
	s_wait_dscnt 0x0
	v_cmp_lt_u32_e32 vcc_lo, v3, v2
	v_dual_cndmask_b32 v1, v11, v1, vcc_lo :: v_dual_bitop2_b32 v12, 1, v1 bitop3:0x54
	s_delay_alu instid0(VALU_DEP_1) | instskip(NEXT) | instid1(VALU_DEP_1)
	v_cndmask_b32_e32 v0, v12, v0, vcc_lo
	v_sub_nc_u32_e32 v2, v1, v0
	s_delay_alu instid0(VALU_DEP_1) | instskip(NEXT) | instid1(VALU_DEP_1)
	v_lshrrev_b16 v11, 15, v2
	v_add_nc_u16 v2, v2, v11
	s_delay_alu instid0(VALU_DEP_1) | instskip(NEXT) | instid1(VALU_DEP_1)
	v_ashrrev_i16 v2, 1, v2
	v_bfe_i32 v2, v2, 0, 16
	s_delay_alu instid0(VALU_DEP_1) | instskip(NEXT) | instid1(VALU_DEP_1)
	v_add_min_i32_e64 v2, v0, v2, 0xff
	v_dual_lshlrev_b32 v11, 2, v2 :: v_dual_add_nc_u32 v12, 1, v2
	ds_load_b32 v11, v11 offset:1024
	s_wait_dscnt 0x0
	v_cmp_lt_u32_e32 vcc_lo, v3, v11
	v_dual_cndmask_b32 v0, v12, v0 :: v_dual_cndmask_b32 v1, v1, v2
	s_delay_alu instid0(VALU_DEP_1) | instskip(NEXT) | instid1(VALU_DEP_1)
	v_sub_nc_u32_e32 v2, v1, v0
	v_lshrrev_b16 v11, 15, v2
	s_delay_alu instid0(VALU_DEP_1) | instskip(NEXT) | instid1(VALU_DEP_1)
	v_add_nc_u16 v2, v2, v11
	v_ashrrev_i16 v2, 1, v2
	s_delay_alu instid0(VALU_DEP_1) | instskip(NEXT) | instid1(VALU_DEP_1)
	v_bfe_i32 v2, v2, 0, 16
	v_add_min_i32_e64 v2, v0, v2, 0xff
	s_delay_alu instid0(VALU_DEP_1) | instskip(SKIP_4) | instid1(VALU_DEP_1)
	v_lshlrev_b32_e32 v11, 2, v2
	ds_load_b32 v11, v11 offset:1024
	s_wait_dscnt 0x0
	v_cmp_lt_u32_e32 vcc_lo, v3, v11
	v_dual_cndmask_b32 v1, v1, v2 :: v_dual_add_nc_u32 v12, 1, v2
	v_cndmask_b32_e32 v0, v12, v0, vcc_lo
	s_delay_alu instid0(VALU_DEP_1) | instskip(NEXT) | instid1(VALU_DEP_1)
	v_sub_nc_u32_e32 v2, v1, v0
	v_lshrrev_b16 v11, 15, v2
	s_delay_alu instid0(VALU_DEP_1) | instskip(NEXT) | instid1(VALU_DEP_1)
	v_add_nc_u16 v2, v2, v11
	v_ashrrev_i16 v2, 1, v2
	s_delay_alu instid0(VALU_DEP_1) | instskip(NEXT) | instid1(VALU_DEP_1)
	v_bfe_i32 v2, v2, 0, 16
	v_add_min_i32_e64 v2, v0, v2, 0xff
	s_delay_alu instid0(VALU_DEP_1) | instskip(SKIP_4) | instid1(VALU_DEP_1)
	v_dual_lshlrev_b32 v11, 2, v2 :: v_dual_add_nc_u32 v12, 1, v2
	ds_load_b32 v11, v11 offset:1024
	s_wait_dscnt 0x0
	v_cmp_lt_u32_e32 vcc_lo, v3, v11
	v_dual_cndmask_b32 v0, v12, v0 :: v_dual_cndmask_b32 v1, v1, v2
	v_sub_nc_u32_e32 v2, v1, v0
	s_delay_alu instid0(VALU_DEP_1) | instskip(NEXT) | instid1(VALU_DEP_1)
	v_lshrrev_b16 v11, 15, v2
	v_add_nc_u16 v2, v2, v11
	s_delay_alu instid0(VALU_DEP_1) | instskip(NEXT) | instid1(VALU_DEP_1)
	v_ashrrev_i16 v2, 1, v2
	v_bfe_i32 v2, v2, 0, 16
	s_delay_alu instid0(VALU_DEP_1) | instskip(NEXT) | instid1(VALU_DEP_1)
	v_add_min_i32_e64 v2, v0, v2, 0xff
	v_lshlrev_b32_e32 v11, 2, v2
	ds_load_b32 v11, v11 offset:1024
	s_wait_dscnt 0x0
	v_cmp_lt_u32_e32 vcc_lo, v3, v11
	v_dual_cndmask_b32 v1, v1, v2 :: v_dual_add_nc_u32 v12, 1, v2
	s_delay_alu instid0(VALU_DEP_1) | instskip(NEXT) | instid1(VALU_DEP_1)
	v_cndmask_b32_e32 v0, v12, v0, vcc_lo
	v_sub_nc_u32_e32 v2, v1, v0
	s_delay_alu instid0(VALU_DEP_1) | instskip(NEXT) | instid1(VALU_DEP_1)
	v_lshrrev_b16 v11, 15, v2
	v_add_nc_u16 v2, v2, v11
	s_delay_alu instid0(VALU_DEP_1) | instskip(NEXT) | instid1(VALU_DEP_1)
	v_ashrrev_i16 v2, 1, v2
	v_bfe_i32 v2, v2, 0, 16
	s_delay_alu instid0(VALU_DEP_1) | instskip(NEXT) | instid1(VALU_DEP_1)
	v_add_min_i32_e64 v2, v0, v2, 0xff
	v_dual_lshlrev_b32 v11, 2, v2 :: v_dual_add_nc_u32 v12, 1, v2
	ds_load_b32 v11, v11 offset:1024
	s_wait_dscnt 0x0
	v_cmp_lt_u32_e32 vcc_lo, v3, v11
	v_dual_cndmask_b32 v0, v12, v0 :: v_dual_cndmask_b32 v1, v1, v2
	s_delay_alu instid0(VALU_DEP_1) | instskip(NEXT) | instid1(VALU_DEP_1)
	v_sub_nc_u32_e32 v2, v1, v0
	v_lshrrev_b16 v11, 15, v2
	s_delay_alu instid0(VALU_DEP_1) | instskip(NEXT) | instid1(VALU_DEP_1)
	v_add_nc_u16 v2, v2, v11
	v_ashrrev_i16 v2, 1, v2
	s_delay_alu instid0(VALU_DEP_1) | instskip(NEXT) | instid1(VALU_DEP_1)
	v_bfe_i32 v2, v2, 0, 16
	v_add_min_i32_e64 v2, v0, v2, 0xff
	s_delay_alu instid0(VALU_DEP_1) | instskip(SKIP_4) | instid1(VALU_DEP_1)
	v_lshlrev_b32_e32 v11, 2, v2
	ds_load_b32 v11, v11 offset:1024
	s_wait_dscnt 0x0
	v_cmp_lt_u32_e32 vcc_lo, v3, v11
	v_dual_cndmask_b32 v1, v1, v2 :: v_dual_add_nc_u32 v12, 1, v2
	v_cndmask_b32_e32 v0, v12, v0, vcc_lo
	s_delay_alu instid0(VALU_DEP_1) | instskip(NEXT) | instid1(VALU_DEP_1)
	v_sub_nc_u32_e32 v1, v1, v0
	v_lshrrev_b16 v2, 15, v1
	s_delay_alu instid0(VALU_DEP_1) | instskip(NEXT) | instid1(VALU_DEP_1)
	v_add_nc_u16 v1, v1, v2
	v_ashrrev_i16 v1, 1, v1
	s_delay_alu instid0(VALU_DEP_1) | instskip(NEXT) | instid1(VALU_DEP_1)
	v_bfe_i32 v1, v1, 0, 16
	v_add_min_i32_e64 v1, v0, v1, 0xff
	s_delay_alu instid0(VALU_DEP_1) | instskip(SKIP_4) | instid1(VALU_DEP_1)
	v_dual_lshlrev_b32 v2, 2, v1 :: v_dual_add_nc_u32 v1, 1, v1
	ds_load_b32 v2, v2 offset:1024
	s_wait_dscnt 0x0
	v_cmp_lt_u32_e32 vcc_lo, v3, v2
	v_cndmask_b32_e32 v2, v1, v0, vcc_lo
                                        ; implicit-def: $vgpr1
	v_dual_add_nc_u32 v11, -1, v2 :: v_dual_lshlrev_b32 v12, 2, v2
	s_delay_alu instid0(VALU_DEP_1)
	v_cmpx_ne_u32_e32 0xff, v11
	s_xor_b32 s5, exec_lo, s5
; %bb.6:                                ;   in Loop: Header=BB0_5 Depth=2
	ds_load_b32 v1, v12 offset:1024
; %bb.7:                                ;   in Loop: Header=BB0_5 Depth=2
	s_and_not1_saveexec_b32 s5, s5
	s_cbranch_execz .LBB0_9
; %bb.8:                                ;   in Loop: Header=BB0_5 Depth=2
	s_wait_dscnt 0x0
	v_add_nc_u32_e32 v1, 4, v3
.LBB0_9:                                ;   in Loop: Header=BB0_5 Depth=2
	s_or_b32 exec_lo, exec_lo, s5
	s_wait_dscnt 0x0
	s_delay_alu instid0(VALU_DEP_1)
	v_dual_lshlrev_b32 v0, 2, v11 :: v_dual_add_nc_u32 v13, -1, v1
	s_mov_b32 s5, exec_lo
	ds_load_b32 v0, v0
	s_wait_dscnt 0x0
	v_mov_b32_e32 v1, v0
	v_cmpx_eq_u32_e64 v3, v13
	s_cbranch_execz .LBB0_15
; %bb.10:                               ;   in Loop: Header=BB0_5 Depth=2
	s_mov_b32 s6, exec_lo
                                        ; implicit-def: $vgpr11
	v_cmpx_ne_u32_e32 0xff, v2
	s_xor_b32 s6, exec_lo, s6
; %bb.11:                               ;   in Loop: Header=BB0_5 Depth=2
	ds_load_b32 v11, v12 offset:1028
; %bb.12:                               ;   in Loop: Header=BB0_5 Depth=2
	s_and_not1_saveexec_b32 s6, s6
	s_cbranch_execz .LBB0_14
; %bb.13:                               ;   in Loop: Header=BB0_5 Depth=2
	s_wait_dscnt 0x0
	v_add_nc_u32_e32 v11, 4, v3
.LBB0_14:                               ;   in Loop: Header=BB0_5 Depth=2
	s_or_b32 exec_lo, exec_lo, s6
	ds_load_b32 v1, v12
	s_wait_dscnt 0x1
	v_dual_add_nc_u32 v13, -1, v11 :: v_dual_mov_b32 v11, v2
.LBB0_15:                               ;   in Loop: Header=BB0_5 Depth=2
	s_or_b32 exec_lo, exec_lo, s5
	v_add_nc_u32_e32 v2, 1, v3
	s_delay_alu instid0(VALU_DEP_1)
	v_cmp_eq_u32_e32 vcc_lo, v2, v13
	s_wait_dscnt 0x0
	v_mov_b32_e32 v2, v1
	s_and_saveexec_b32 s5, vcc_lo
	s_cbranch_execz .LBB0_21
; %bb.16:                               ;   in Loop: Header=BB0_5 Depth=2
	v_dual_add_nc_u32 v12, 1, v11 :: v_dual_lshlrev_b32 v2, 2, v11
	s_mov_b32 s6, exec_lo
                                        ; implicit-def: $vgpr11
	s_delay_alu instid0(VALU_DEP_1)
	v_cmpx_ne_u32_e32 0xff, v12
	s_xor_b32 s6, exec_lo, s6
; %bb.17:                               ;   in Loop: Header=BB0_5 Depth=2
	ds_load_b32 v11, v2 offset:1032
; %bb.18:                               ;   in Loop: Header=BB0_5 Depth=2
	s_and_not1_saveexec_b32 s6, s6
	s_cbranch_execz .LBB0_20
; %bb.19:                               ;   in Loop: Header=BB0_5 Depth=2
	s_wait_dscnt 0x0
	v_add_nc_u32_e32 v11, 5, v3
.LBB0_20:                               ;   in Loop: Header=BB0_5 Depth=2
	s_or_b32 exec_lo, exec_lo, s6
	ds_load_b32 v2, v2 offset:4
	s_wait_dscnt 0x1
	v_dual_add_nc_u32 v13, -1, v11 :: v_dual_mov_b32 v11, v12
.LBB0_21:                               ;   in Loop: Header=BB0_5 Depth=2
	s_or_b32 exec_lo, exec_lo, s5
	v_add_nc_u32_e32 v3, 2, v3
	s_delay_alu instid0(VALU_DEP_1)
	v_cmp_eq_u32_e32 vcc_lo, v3, v13
	s_wait_dscnt 0x0
	v_mov_b32_e32 v3, v2
	s_and_saveexec_b32 s5, vcc_lo
	s_cbranch_execnz .LBB0_23
; %bb.22:                               ;   in Loop: Header=BB0_5 Depth=2
	s_or_b32 exec_lo, exec_lo, s5
	s_delay_alu instid0(SALU_CYCLE_1)
	s_and_not1_b32 vcc_lo, exec_lo, s2
	s_cbranch_vccnz .LBB0_4
	s_branch .LBB0_24
.LBB0_23:                               ;   in Loop: Header=BB0_5 Depth=2
	v_lshlrev_b32_e32 v3, 2, v11
	ds_load_b32 v3, v3 offset:4
	s_or_b32 exec_lo, exec_lo, s5
	s_delay_alu instid0(SALU_CYCLE_1)
	s_and_not1_b32 vcc_lo, exec_lo, s2
	s_cbranch_vccnz .LBB0_4
.LBB0_24:                               ;   in Loop: Header=BB0_5 Depth=2
	s_wait_dscnt 0x0
	global_store_b128 v[6:7], v[0:3], off offset:-8
	s_branch .LBB0_4
.LBB0_25:
	s_endpgm
	.section	.rodata,"a",@progbits
	.p2align	6, 0x0
	.amdhsa_kernel _Z30block_run_length_decode_kernelIiiLj128ELj2ELj4ELj100EEvPKT_PKT0_PS0_b
		.amdhsa_group_segment_fixed_size 2048
		.amdhsa_private_segment_fixed_size 0
		.amdhsa_kernarg_size 28
		.amdhsa_user_sgpr_count 2
		.amdhsa_user_sgpr_dispatch_ptr 0
		.amdhsa_user_sgpr_queue_ptr 0
		.amdhsa_user_sgpr_kernarg_segment_ptr 1
		.amdhsa_user_sgpr_dispatch_id 0
		.amdhsa_user_sgpr_kernarg_preload_length 0
		.amdhsa_user_sgpr_kernarg_preload_offset 0
		.amdhsa_user_sgpr_private_segment_size 0
		.amdhsa_wavefront_size32 1
		.amdhsa_uses_dynamic_stack 0
		.amdhsa_enable_private_segment 0
		.amdhsa_system_sgpr_workgroup_id_x 1
		.amdhsa_system_sgpr_workgroup_id_y 0
		.amdhsa_system_sgpr_workgroup_id_z 0
		.amdhsa_system_sgpr_workgroup_info 0
		.amdhsa_system_vgpr_workitem_id 0
		.amdhsa_next_free_vgpr 14
		.amdhsa_next_free_sgpr 12
		.amdhsa_named_barrier_count 0
		.amdhsa_reserve_vcc 1
		.amdhsa_float_round_mode_32 0
		.amdhsa_float_round_mode_16_64 0
		.amdhsa_float_denorm_mode_32 3
		.amdhsa_float_denorm_mode_16_64 3
		.amdhsa_fp16_overflow 0
		.amdhsa_memory_ordered 1
		.amdhsa_forward_progress 1
		.amdhsa_inst_pref_size 12
		.amdhsa_round_robin_scheduling 0
		.amdhsa_exception_fp_ieee_invalid_op 0
		.amdhsa_exception_fp_denorm_src 0
		.amdhsa_exception_fp_ieee_div_zero 0
		.amdhsa_exception_fp_ieee_overflow 0
		.amdhsa_exception_fp_ieee_underflow 0
		.amdhsa_exception_fp_ieee_inexact 0
		.amdhsa_exception_int_div_zero 0
	.end_amdhsa_kernel
	.section	.text._Z30block_run_length_decode_kernelIiiLj128ELj2ELj4ELj100EEvPKT_PKT0_PS0_b,"axG",@progbits,_Z30block_run_length_decode_kernelIiiLj128ELj2ELj4ELj100EEvPKT_PKT0_PS0_b,comdat
.Lfunc_end0:
	.size	_Z30block_run_length_decode_kernelIiiLj128ELj2ELj4ELj100EEvPKT_PKT0_PS0_b, .Lfunc_end0-_Z30block_run_length_decode_kernelIiiLj128ELj2ELj4ELj100EEvPKT_PKT0_PS0_b
                                        ; -- End function
	.set _Z30block_run_length_decode_kernelIiiLj128ELj2ELj4ELj100EEvPKT_PKT0_PS0_b.num_vgpr, 14
	.set _Z30block_run_length_decode_kernelIiiLj128ELj2ELj4ELj100EEvPKT_PKT0_PS0_b.num_agpr, 0
	.set _Z30block_run_length_decode_kernelIiiLj128ELj2ELj4ELj100EEvPKT_PKT0_PS0_b.numbered_sgpr, 12
	.set _Z30block_run_length_decode_kernelIiiLj128ELj2ELj4ELj100EEvPKT_PKT0_PS0_b.num_named_barrier, 0
	.set _Z30block_run_length_decode_kernelIiiLj128ELj2ELj4ELj100EEvPKT_PKT0_PS0_b.private_seg_size, 0
	.set _Z30block_run_length_decode_kernelIiiLj128ELj2ELj4ELj100EEvPKT_PKT0_PS0_b.uses_vcc, 1
	.set _Z30block_run_length_decode_kernelIiiLj128ELj2ELj4ELj100EEvPKT_PKT0_PS0_b.uses_flat_scratch, 0
	.set _Z30block_run_length_decode_kernelIiiLj128ELj2ELj4ELj100EEvPKT_PKT0_PS0_b.has_dyn_sized_stack, 0
	.set _Z30block_run_length_decode_kernelIiiLj128ELj2ELj4ELj100EEvPKT_PKT0_PS0_b.has_recursion, 0
	.set _Z30block_run_length_decode_kernelIiiLj128ELj2ELj4ELj100EEvPKT_PKT0_PS0_b.has_indirect_call, 0
	.section	.AMDGPU.csdata,"",@progbits
; Kernel info:
; codeLenInByte = 1500
; TotalNumSgprs: 14
; NumVgprs: 14
; ScratchSize: 0
; MemoryBound: 0
; FloatMode: 240
; IeeeMode: 1
; LDSByteSize: 2048 bytes/workgroup (compile time only)
; SGPRBlocks: 0
; VGPRBlocks: 0
; NumSGPRsForWavesPerEU: 14
; NumVGPRsForWavesPerEU: 14
; NamedBarCnt: 0
; Occupancy: 16
; WaveLimiterHint : 0
; COMPUTE_PGM_RSRC2:SCRATCH_EN: 0
; COMPUTE_PGM_RSRC2:USER_SGPR: 2
; COMPUTE_PGM_RSRC2:TRAP_HANDLER: 0
; COMPUTE_PGM_RSRC2:TGID_X_EN: 1
; COMPUTE_PGM_RSRC2:TGID_Y_EN: 0
; COMPUTE_PGM_RSRC2:TGID_Z_EN: 0
; COMPUTE_PGM_RSRC2:TIDIG_COMP_CNT: 0
	.section	.text._Z30block_run_length_decode_kernelIdxLj128ELj2ELj4ELj100EEvPKT_PKT0_PS0_b,"axG",@progbits,_Z30block_run_length_decode_kernelIdxLj128ELj2ELj4ELj100EEvPKT_PKT0_PS0_b,comdat
	.protected	_Z30block_run_length_decode_kernelIdxLj128ELj2ELj4ELj100EEvPKT_PKT0_PS0_b ; -- Begin function _Z30block_run_length_decode_kernelIdxLj128ELj2ELj4ELj100EEvPKT_PKT0_PS0_b
	.globl	_Z30block_run_length_decode_kernelIdxLj128ELj2ELj4ELj100EEvPKT_PKT0_PS0_b
	.p2align	8
	.type	_Z30block_run_length_decode_kernelIdxLj128ELj2ELj4ELj100EEvPKT_PKT0_PS0_b,@function
_Z30block_run_length_decode_kernelIdxLj128ELj2ELj4ELj100EEvPKT_PKT0_PS0_b: ; @_Z30block_run_length_decode_kernelIdxLj128ELj2ELj4ELj100EEvPKT_PKT0_PS0_b
; %bb.0:
	s_load_b96 s[4:6], s[0:1], 0x10
	s_getreg_b32 s7, hwreg(HW_REG_IB_STS2, 6, 4)
	s_wait_kmcnt 0x0
	s_bitcmp1_b32 s6, 0
	s_cselect_b32 s6, -1, 0
	s_bfe_u32 s2, ttmp6, 0x4000c
	s_and_b32 s3, ttmp6, 15
	s_add_co_i32 s2, s2, 1
	s_delay_alu instid0(SALU_CYCLE_1) | instskip(NEXT) | instid1(SALU_CYCLE_1)
	s_mul_i32 s2, ttmp9, s2
	s_add_co_i32 s8, s3, s2
	s_cmp_eq_u32 s7, 0
	s_load_b128 s[0:3], s[0:1], 0x0
	s_cselect_b32 s7, ttmp9, s8
	s_delay_alu instid0(SALU_CYCLE_1) | instskip(SKIP_2) | instid1(SALU_CYCLE_1)
	v_lshl_or_b32 v1, s7, 7, v0
	v_mov_b32_e32 v9, 0
	s_lshl_b32 s7, s7, 8
	s_add_co_i32 s10, s7, 0x100
	s_delay_alu instid0(VALU_DEP_2) | instskip(NEXT) | instid1(VALU_DEP_1)
	v_lshlrev_b32_e32 v8, 1, v1
	v_lshlrev_b64_e32 v[2:3], 3, v[8:9]
	v_lshlrev_b32_e32 v8, 2, v1
	s_wait_kmcnt 0x0
	s_delay_alu instid0(VALU_DEP_2)
	v_add_nc_u64_e32 v[6:7], s[0:1], v[2:3]
	v_add_nc_u64_e32 v[14:15], s[2:3], v[2:3]
	global_load_b128 v[2:5], v[6:7], off
	global_load_b128 v[10:13], v[14:15], off
	s_wait_xcnt 0x1
	v_dual_lshlrev_b32 v6, 4, v0 :: v_dual_lshlrev_b32 v7, 3, v0
	s_wait_xcnt 0x0
	v_mov_b32_e32 v15, 0x80
	s_delay_alu instid0(VALU_DEP_2)
	v_sub_nc_u32_e32 v7, v6, v7
	s_wait_loadcnt 0x1
	ds_store_b64 v6, v[2:3]
	s_wait_loadcnt 0x0
	ds_store_b32 v7, v10 offset:2048
	ds_store_b64 v6, v[4:5] offset:8
	ds_store_b32 v7, v12 offset:2052
	s_wait_dscnt 0x0
	s_barrier_signal -1
	s_barrier_wait -1
	s_clause 0x1
	s_load_b64 s[0:1], s[2:3], s10 offset:0x0 scale_offset
	s_load_b64 s[8:9], s[2:3], s7 offset:0x0 scale_offset
	ds_load_b32 v14, v9 offset:2560
	v_lshl_add_u64 v[2:3], v[8:9], 3, s[4:5]
	v_lshlrev_b32_e32 v8, 2, v0
	s_mov_b32 s5, 0
	s_delay_alu instid0(VALU_DEP_2) | instskip(SKIP_2) | instid1(SALU_CYCLE_1)
	v_add_nc_u64_e32 v[10:11], 16, v[2:3]
	s_wait_kmcnt 0x0
	s_sub_nc_u64 s[0:1], s[0:1], s[8:9]
	v_cmp_gt_i64_e64 s4, s[0:1], 0
	s_branch .LBB1_2
.LBB1_1:                                ;   in Loop: Header=BB1_2 Depth=1
	s_add_co_i32 s5, s5, 1
	s_delay_alu instid0(SALU_CYCLE_1)
	s_cmp_eq_u32 s5, 0x64
	s_cbranch_scc1 .LBB1_25
.LBB1_2:                                ; =>This Loop Header: Depth=1
                                        ;     Child Loop BB1_5 Depth 2
	s_delay_alu instid0(VALU_DEP_1)
	s_and_not1_b32 vcc_lo, exec_lo, s4
	s_cbranch_vccnz .LBB1_1
; %bb.3:                                ;   in Loop: Header=BB1_2 Depth=1
	v_mov_b64_e32 v[12:13], v[10:11]
	s_mov_b64 s[2:3], 0
	s_branch .LBB1_5
.LBB1_4:                                ;   in Loop: Header=BB1_5 Depth=2
	s_add_nc_u64 s[2:3], s[2:3], 0x200
	s_wait_xcnt 0x0
	v_add_nc_u64_e32 v[12:13], 0x1000, v[12:13]
	v_cmp_lt_i64_e64 s7, s[2:3], s[0:1]
	s_and_b32 vcc_lo, exec_lo, s7
	s_cbranch_vccz .LBB1_1
.LBB1_5:                                ;   Parent Loop BB1_2 Depth=1
                                        ; =>  This Inner Loop Header: Depth=2
	s_wait_dscnt 0x0
	v_add_nc_u64_e32 v[6:7], s[2:3], v[8:9]
	s_mov_b32 s7, exec_lo
	s_wait_dscnt 0x0
	s_delay_alu instid0(VALU_DEP_1) | instskip(SKIP_2) | instid1(VALU_DEP_2)
	v_cmp_lt_u32_e32 vcc_lo, v6, v14
	v_cndmask_b32_e64 v1, 0xc0, 64, vcc_lo
	v_cndmask_b32_e64 v0, 0x81, 0, vcc_lo
	v_dual_cndmask_b32 v3, 0x100, v15 :: v_dual_lshlrev_b32 v2, 2, v1
	ds_load_b32 v2, v2 offset:2048
	s_wait_dscnt 0x0
	v_cmp_lt_u32_e32 vcc_lo, v6, v2
	v_dual_cndmask_b32 v1, v3, v1, vcc_lo :: v_dual_bitop2_b32 v4, 1, v1 bitop3:0x54
	s_delay_alu instid0(VALU_DEP_1) | instskip(NEXT) | instid1(VALU_DEP_1)
	v_cndmask_b32_e32 v0, v4, v0, vcc_lo
	v_sub_nc_u32_e32 v2, v1, v0
	s_delay_alu instid0(VALU_DEP_1) | instskip(NEXT) | instid1(VALU_DEP_1)
	v_lshrrev_b16 v3, 15, v2
	v_add_nc_u16 v2, v2, v3
	s_delay_alu instid0(VALU_DEP_1) | instskip(NEXT) | instid1(VALU_DEP_1)
	v_ashrrev_i16 v2, 1, v2
	v_bfe_i32 v2, v2, 0, 16
	s_delay_alu instid0(VALU_DEP_1) | instskip(NEXT) | instid1(VALU_DEP_1)
	v_add_min_i32_e64 v2, v0, v2, 0xff
	v_lshlrev_b32_e32 v3, 2, v2
	ds_load_b32 v3, v3 offset:2048
	s_wait_dscnt 0x0
	v_cmp_lt_u32_e32 vcc_lo, v6, v3
	v_dual_cndmask_b32 v1, v1, v2 :: v_dual_add_nc_u32 v4, 1, v2
	s_delay_alu instid0(VALU_DEP_1) | instskip(NEXT) | instid1(VALU_DEP_1)
	v_cndmask_b32_e32 v0, v4, v0, vcc_lo
	v_sub_nc_u32_e32 v2, v1, v0
	s_delay_alu instid0(VALU_DEP_1) | instskip(NEXT) | instid1(VALU_DEP_1)
	v_lshrrev_b16 v3, 15, v2
	v_add_nc_u16 v2, v2, v3
	s_delay_alu instid0(VALU_DEP_1) | instskip(NEXT) | instid1(VALU_DEP_1)
	v_ashrrev_i16 v2, 1, v2
	v_bfe_i32 v2, v2, 0, 16
	s_delay_alu instid0(VALU_DEP_1) | instskip(NEXT) | instid1(VALU_DEP_1)
	v_add_min_i32_e64 v2, v0, v2, 0xff
	v_dual_lshlrev_b32 v3, 2, v2 :: v_dual_add_nc_u32 v4, 1, v2
	ds_load_b32 v3, v3 offset:2048
	s_wait_dscnt 0x0
	v_cmp_lt_u32_e32 vcc_lo, v6, v3
	v_dual_cndmask_b32 v0, v4, v0 :: v_dual_cndmask_b32 v1, v1, v2
	s_delay_alu instid0(VALU_DEP_1) | instskip(NEXT) | instid1(VALU_DEP_1)
	v_sub_nc_u32_e32 v2, v1, v0
	v_lshrrev_b16 v3, 15, v2
	s_delay_alu instid0(VALU_DEP_1) | instskip(NEXT) | instid1(VALU_DEP_1)
	v_add_nc_u16 v2, v2, v3
	v_ashrrev_i16 v2, 1, v2
	s_delay_alu instid0(VALU_DEP_1) | instskip(NEXT) | instid1(VALU_DEP_1)
	v_bfe_i32 v2, v2, 0, 16
	v_add_min_i32_e64 v2, v0, v2, 0xff
	s_delay_alu instid0(VALU_DEP_1) | instskip(SKIP_4) | instid1(VALU_DEP_1)
	v_lshlrev_b32_e32 v3, 2, v2
	ds_load_b32 v3, v3 offset:2048
	s_wait_dscnt 0x0
	v_cmp_lt_u32_e32 vcc_lo, v6, v3
	v_dual_cndmask_b32 v1, v1, v2 :: v_dual_add_nc_u32 v4, 1, v2
	v_cndmask_b32_e32 v0, v4, v0, vcc_lo
	s_delay_alu instid0(VALU_DEP_1) | instskip(NEXT) | instid1(VALU_DEP_1)
	v_sub_nc_u32_e32 v2, v1, v0
	v_lshrrev_b16 v3, 15, v2
	s_delay_alu instid0(VALU_DEP_1) | instskip(NEXT) | instid1(VALU_DEP_1)
	v_add_nc_u16 v2, v2, v3
	v_ashrrev_i16 v2, 1, v2
	s_delay_alu instid0(VALU_DEP_1) | instskip(NEXT) | instid1(VALU_DEP_1)
	v_bfe_i32 v2, v2, 0, 16
	v_add_min_i32_e64 v2, v0, v2, 0xff
	s_delay_alu instid0(VALU_DEP_1) | instskip(SKIP_4) | instid1(VALU_DEP_1)
	v_dual_lshlrev_b32 v3, 2, v2 :: v_dual_add_nc_u32 v4, 1, v2
	ds_load_b32 v3, v3 offset:2048
	s_wait_dscnt 0x0
	v_cmp_lt_u32_e32 vcc_lo, v6, v3
	v_dual_cndmask_b32 v0, v4, v0 :: v_dual_cndmask_b32 v1, v1, v2
	v_sub_nc_u32_e32 v2, v1, v0
	s_delay_alu instid0(VALU_DEP_1) | instskip(NEXT) | instid1(VALU_DEP_1)
	v_lshrrev_b16 v3, 15, v2
	v_add_nc_u16 v2, v2, v3
	s_delay_alu instid0(VALU_DEP_1) | instskip(NEXT) | instid1(VALU_DEP_1)
	v_ashrrev_i16 v2, 1, v2
	v_bfe_i32 v2, v2, 0, 16
	s_delay_alu instid0(VALU_DEP_1) | instskip(NEXT) | instid1(VALU_DEP_1)
	v_add_min_i32_e64 v2, v0, v2, 0xff
	v_lshlrev_b32_e32 v3, 2, v2
	ds_load_b32 v3, v3 offset:2048
	s_wait_dscnt 0x0
	v_cmp_lt_u32_e32 vcc_lo, v6, v3
	v_dual_cndmask_b32 v1, v1, v2 :: v_dual_add_nc_u32 v4, 1, v2
	s_delay_alu instid0(VALU_DEP_1) | instskip(NEXT) | instid1(VALU_DEP_1)
	v_cndmask_b32_e32 v0, v4, v0, vcc_lo
	v_sub_nc_u32_e32 v2, v1, v0
	s_delay_alu instid0(VALU_DEP_1) | instskip(NEXT) | instid1(VALU_DEP_1)
	v_lshrrev_b16 v3, 15, v2
	v_add_nc_u16 v2, v2, v3
	s_delay_alu instid0(VALU_DEP_1) | instskip(NEXT) | instid1(VALU_DEP_1)
	v_ashrrev_i16 v2, 1, v2
	v_bfe_i32 v2, v2, 0, 16
	s_delay_alu instid0(VALU_DEP_1) | instskip(NEXT) | instid1(VALU_DEP_1)
	v_add_min_i32_e64 v2, v0, v2, 0xff
	v_dual_lshlrev_b32 v3, 2, v2 :: v_dual_add_nc_u32 v4, 1, v2
	ds_load_b32 v3, v3 offset:2048
	s_wait_dscnt 0x0
	v_cmp_lt_u32_e32 vcc_lo, v6, v3
	v_dual_cndmask_b32 v0, v4, v0 :: v_dual_cndmask_b32 v1, v1, v2
	s_delay_alu instid0(VALU_DEP_1) | instskip(NEXT) | instid1(VALU_DEP_1)
	v_sub_nc_u32_e32 v1, v1, v0
	v_lshrrev_b16 v2, 15, v1
	s_delay_alu instid0(VALU_DEP_1) | instskip(NEXT) | instid1(VALU_DEP_1)
	v_add_nc_u16 v1, v1, v2
	v_ashrrev_i16 v1, 1, v1
	s_delay_alu instid0(VALU_DEP_1) | instskip(NEXT) | instid1(VALU_DEP_1)
	v_bfe_i32 v1, v1, 0, 16
	v_add_min_i32_e64 v1, v0, v1, 0xff
	s_delay_alu instid0(VALU_DEP_1) | instskip(SKIP_4) | instid1(VALU_DEP_1)
	v_dual_lshlrev_b32 v2, 2, v1 :: v_dual_add_nc_u32 v1, 1, v1
	ds_load_b32 v2, v2 offset:2048
	s_wait_dscnt 0x0
	v_cmp_lt_u32_e32 vcc_lo, v6, v2
                                        ; implicit-def: $vgpr2
	v_cndmask_b32_e32 v4, v1, v0, vcc_lo
	v_add_nc_u32_e32 v16, -1, v4
	s_delay_alu instid0(VALU_DEP_1)
	v_cmpx_ne_u32_e32 0xff, v16
	s_xor_b32 s7, exec_lo, s7
; %bb.6:                                ;   in Loop: Header=BB1_5 Depth=2
	v_lshlrev_b32_e32 v0, 2, v4
	ds_load_b32 v2, v0 offset:2048
; %bb.7:                                ;   in Loop: Header=BB1_5 Depth=2
	s_and_not1_saveexec_b32 s7, s7
	s_cbranch_execz .LBB1_9
; %bb.8:                                ;   in Loop: Header=BB1_5 Depth=2
	s_wait_dscnt 0x0
	v_add_nc_u32_e32 v2, 4, v6
.LBB1_9:                                ;   in Loop: Header=BB1_5 Depth=2
	s_or_b32 exec_lo, exec_lo, s7
	s_wait_dscnt 0x0
	s_delay_alu instid0(VALU_DEP_1)
	v_dual_lshlrev_b32 v0, 3, v16 :: v_dual_add_nc_u32 v7, -1, v2
	s_mov_b32 s7, exec_lo
	ds_load_b64 v[0:1], v0
	s_wait_dscnt 0x0
	v_mov_b64_e32 v[2:3], v[0:1]
	v_cmpx_eq_u32_e64 v6, v7
	s_cbranch_execz .LBB1_15
; %bb.10:                               ;   in Loop: Header=BB1_5 Depth=2
	s_mov_b32 s8, exec_lo
                                        ; implicit-def: $vgpr5
	v_cmpx_ne_u32_e32 0xff, v4
	s_xor_b32 s8, exec_lo, s8
; %bb.11:                               ;   in Loop: Header=BB1_5 Depth=2
	v_lshlrev_b32_e32 v2, 2, v4
	ds_load_b32 v5, v2 offset:2052
; %bb.12:                               ;   in Loop: Header=BB1_5 Depth=2
	s_and_not1_saveexec_b32 s8, s8
	s_cbranch_execz .LBB1_14
; %bb.13:                               ;   in Loop: Header=BB1_5 Depth=2
	s_wait_dscnt 0x0
	v_add_nc_u32_e32 v5, 4, v6
.LBB1_14:                               ;   in Loop: Header=BB1_5 Depth=2
	s_or_b32 exec_lo, exec_lo, s8
	s_wait_dscnt 0x0
	s_delay_alu instid0(VALU_DEP_1)
	v_dual_lshlrev_b32 v2, 3, v4 :: v_dual_add_nc_u32 v7, -1, v5
	v_mov_b32_e32 v16, v4
	ds_load_b64 v[2:3], v2
.LBB1_15:                               ;   in Loop: Header=BB1_5 Depth=2
	s_or_b32 exec_lo, exec_lo, s7
	v_add_nc_u32_e32 v4, 1, v6
	s_delay_alu instid0(VALU_DEP_1)
	v_cmp_eq_u32_e32 vcc_lo, v4, v7
	s_wait_dscnt 0x0
	v_mov_b64_e32 v[4:5], v[2:3]
	s_and_saveexec_b32 s7, vcc_lo
	s_cbranch_execz .LBB1_21
; %bb.16:                               ;   in Loop: Header=BB1_5 Depth=2
	v_add_nc_u32_e32 v17, 1, v16
	s_mov_b32 s8, exec_lo
                                        ; implicit-def: $vgpr7
	s_delay_alu instid0(VALU_DEP_1)
	v_cmpx_ne_u32_e32 0xff, v17
	s_xor_b32 s8, exec_lo, s8
; %bb.17:                               ;   in Loop: Header=BB1_5 Depth=2
	v_lshlrev_b32_e32 v4, 2, v16
	ds_load_b32 v7, v4 offset:2056
; %bb.18:                               ;   in Loop: Header=BB1_5 Depth=2
	s_and_not1_saveexec_b32 s8, s8
	s_cbranch_execz .LBB1_20
; %bb.19:                               ;   in Loop: Header=BB1_5 Depth=2
	s_wait_dscnt 0x0
	v_add_nc_u32_e32 v7, 5, v6
.LBB1_20:                               ;   in Loop: Header=BB1_5 Depth=2
	s_or_b32 exec_lo, exec_lo, s8
	s_wait_dscnt 0x0
	s_delay_alu instid0(VALU_DEP_1)
	v_dual_lshlrev_b32 v4, 3, v16 :: v_dual_add_nc_u32 v7, -1, v7
	v_mov_b32_e32 v16, v17
	ds_load_b64 v[4:5], v4 offset:8
.LBB1_21:                               ;   in Loop: Header=BB1_5 Depth=2
	s_or_b32 exec_lo, exec_lo, s7
	v_add_nc_u32_e32 v6, 2, v6
	s_delay_alu instid0(VALU_DEP_1)
	v_cmp_eq_u32_e32 vcc_lo, v6, v7
	s_wait_dscnt 0x0
	v_mov_b64_e32 v[6:7], v[4:5]
	s_and_saveexec_b32 s7, vcc_lo
; %bb.22:                               ;   in Loop: Header=BB1_5 Depth=2
	v_lshlrev_b32_e32 v6, 3, v16
	ds_load_b64 v[6:7], v6 offset:8
; %bb.23:                               ;   in Loop: Header=BB1_5 Depth=2
	s_or_b32 exec_lo, exec_lo, s7
	s_delay_alu instid0(SALU_CYCLE_1)
	s_and_not1_b32 vcc_lo, exec_lo, s6
	s_cbranch_vccnz .LBB1_4
; %bb.24:                               ;   in Loop: Header=BB1_5 Depth=2
	global_store_b128 v[12:13], v[0:3], off offset:-16
	s_wait_dscnt 0x0
	global_store_b128 v[12:13], v[4:7], off
	s_branch .LBB1_4
.LBB1_25:
	s_endpgm
	.section	.rodata,"a",@progbits
	.p2align	6, 0x0
	.amdhsa_kernel _Z30block_run_length_decode_kernelIdxLj128ELj2ELj4ELj100EEvPKT_PKT0_PS0_b
		.amdhsa_group_segment_fixed_size 3072
		.amdhsa_private_segment_fixed_size 0
		.amdhsa_kernarg_size 28
		.amdhsa_user_sgpr_count 2
		.amdhsa_user_sgpr_dispatch_ptr 0
		.amdhsa_user_sgpr_queue_ptr 0
		.amdhsa_user_sgpr_kernarg_segment_ptr 1
		.amdhsa_user_sgpr_dispatch_id 0
		.amdhsa_user_sgpr_kernarg_preload_length 0
		.amdhsa_user_sgpr_kernarg_preload_offset 0
		.amdhsa_user_sgpr_private_segment_size 0
		.amdhsa_wavefront_size32 1
		.amdhsa_uses_dynamic_stack 0
		.amdhsa_enable_private_segment 0
		.amdhsa_system_sgpr_workgroup_id_x 1
		.amdhsa_system_sgpr_workgroup_id_y 0
		.amdhsa_system_sgpr_workgroup_id_z 0
		.amdhsa_system_sgpr_workgroup_info 0
		.amdhsa_system_vgpr_workitem_id 0
		.amdhsa_next_free_vgpr 18
		.amdhsa_next_free_sgpr 11
		.amdhsa_named_barrier_count 0
		.amdhsa_reserve_vcc 1
		.amdhsa_float_round_mode_32 0
		.amdhsa_float_round_mode_16_64 0
		.amdhsa_float_denorm_mode_32 3
		.amdhsa_float_denorm_mode_16_64 3
		.amdhsa_fp16_overflow 0
		.amdhsa_memory_ordered 1
		.amdhsa_forward_progress 1
		.amdhsa_inst_pref_size 13
		.amdhsa_round_robin_scheduling 0
		.amdhsa_exception_fp_ieee_invalid_op 0
		.amdhsa_exception_fp_denorm_src 0
		.amdhsa_exception_fp_ieee_div_zero 0
		.amdhsa_exception_fp_ieee_overflow 0
		.amdhsa_exception_fp_ieee_underflow 0
		.amdhsa_exception_fp_ieee_inexact 0
		.amdhsa_exception_int_div_zero 0
	.end_amdhsa_kernel
	.section	.text._Z30block_run_length_decode_kernelIdxLj128ELj2ELj4ELj100EEvPKT_PKT0_PS0_b,"axG",@progbits,_Z30block_run_length_decode_kernelIdxLj128ELj2ELj4ELj100EEvPKT_PKT0_PS0_b,comdat
.Lfunc_end1:
	.size	_Z30block_run_length_decode_kernelIdxLj128ELj2ELj4ELj100EEvPKT_PKT0_PS0_b, .Lfunc_end1-_Z30block_run_length_decode_kernelIdxLj128ELj2ELj4ELj100EEvPKT_PKT0_PS0_b
                                        ; -- End function
	.set _Z30block_run_length_decode_kernelIdxLj128ELj2ELj4ELj100EEvPKT_PKT0_PS0_b.num_vgpr, 18
	.set _Z30block_run_length_decode_kernelIdxLj128ELj2ELj4ELj100EEvPKT_PKT0_PS0_b.num_agpr, 0
	.set _Z30block_run_length_decode_kernelIdxLj128ELj2ELj4ELj100EEvPKT_PKT0_PS0_b.numbered_sgpr, 11
	.set _Z30block_run_length_decode_kernelIdxLj128ELj2ELj4ELj100EEvPKT_PKT0_PS0_b.num_named_barrier, 0
	.set _Z30block_run_length_decode_kernelIdxLj128ELj2ELj4ELj100EEvPKT_PKT0_PS0_b.private_seg_size, 0
	.set _Z30block_run_length_decode_kernelIdxLj128ELj2ELj4ELj100EEvPKT_PKT0_PS0_b.uses_vcc, 1
	.set _Z30block_run_length_decode_kernelIdxLj128ELj2ELj4ELj100EEvPKT_PKT0_PS0_b.uses_flat_scratch, 0
	.set _Z30block_run_length_decode_kernelIdxLj128ELj2ELj4ELj100EEvPKT_PKT0_PS0_b.has_dyn_sized_stack, 0
	.set _Z30block_run_length_decode_kernelIdxLj128ELj2ELj4ELj100EEvPKT_PKT0_PS0_b.has_recursion, 0
	.set _Z30block_run_length_decode_kernelIdxLj128ELj2ELj4ELj100EEvPKT_PKT0_PS0_b.has_indirect_call, 0
	.section	.AMDGPU.csdata,"",@progbits
; Kernel info:
; codeLenInByte = 1560
; TotalNumSgprs: 13
; NumVgprs: 18
; ScratchSize: 0
; MemoryBound: 0
; FloatMode: 240
; IeeeMode: 1
; LDSByteSize: 3072 bytes/workgroup (compile time only)
; SGPRBlocks: 0
; VGPRBlocks: 1
; NumSGPRsForWavesPerEU: 13
; NumVGPRsForWavesPerEU: 18
; NamedBarCnt: 0
; Occupancy: 16
; WaveLimiterHint : 0
; COMPUTE_PGM_RSRC2:SCRATCH_EN: 0
; COMPUTE_PGM_RSRC2:USER_SGPR: 2
; COMPUTE_PGM_RSRC2:TRAP_HANDLER: 0
; COMPUTE_PGM_RSRC2:TGID_X_EN: 1
; COMPUTE_PGM_RSRC2:TGID_Y_EN: 0
; COMPUTE_PGM_RSRC2:TGID_Z_EN: 0
; COMPUTE_PGM_RSRC2:TIDIG_COMP_CNT: 0
	.section	.AMDGPU.gpr_maximums,"",@progbits
	.set amdgpu.max_num_vgpr, 0
	.set amdgpu.max_num_agpr, 0
	.set amdgpu.max_num_sgpr, 0
	.section	.AMDGPU.csdata,"",@progbits
	.type	__hip_cuid_c504f107699ab64c,@object ; @__hip_cuid_c504f107699ab64c
	.section	.bss,"aw",@nobits
	.globl	__hip_cuid_c504f107699ab64c
__hip_cuid_c504f107699ab64c:
	.byte	0                               ; 0x0
	.size	__hip_cuid_c504f107699ab64c, 1

	.ident	"AMD clang version 22.0.0git (https://github.com/RadeonOpenCompute/llvm-project roc-7.2.4 26084 f58b06dce1f9c15707c5f808fd002e18c2accf7e)"
	.section	".note.GNU-stack","",@progbits
	.addrsig
	.addrsig_sym __hip_cuid_c504f107699ab64c
	.amdgpu_metadata
---
amdhsa.kernels:
  - .args:
      - .address_space:  global
        .offset:         0
        .size:           8
        .value_kind:     global_buffer
      - .address_space:  global
        .offset:         8
        .size:           8
        .value_kind:     global_buffer
      - .address_space:  global
        .offset:         16
        .size:           8
        .value_kind:     global_buffer
      - .offset:         24
        .size:           1
        .value_kind:     by_value
    .group_segment_fixed_size: 2048
    .kernarg_segment_align: 8
    .kernarg_segment_size: 28
    .language:       OpenCL C
    .language_version:
      - 2
      - 0
    .max_flat_workgroup_size: 128
    .name:           _Z30block_run_length_decode_kernelIiiLj128ELj2ELj4ELj100EEvPKT_PKT0_PS0_b
    .private_segment_fixed_size: 0
    .sgpr_count:     14
    .sgpr_spill_count: 0
    .symbol:         _Z30block_run_length_decode_kernelIiiLj128ELj2ELj4ELj100EEvPKT_PKT0_PS0_b.kd
    .uniform_work_group_size: 1
    .uses_dynamic_stack: false
    .vgpr_count:     14
    .vgpr_spill_count: 0
    .wavefront_size: 32
  - .args:
      - .address_space:  global
        .offset:         0
        .size:           8
        .value_kind:     global_buffer
      - .address_space:  global
        .offset:         8
        .size:           8
        .value_kind:     global_buffer
      - .address_space:  global
        .offset:         16
        .size:           8
        .value_kind:     global_buffer
      - .offset:         24
        .size:           1
        .value_kind:     by_value
    .group_segment_fixed_size: 3072
    .kernarg_segment_align: 8
    .kernarg_segment_size: 28
    .language:       OpenCL C
    .language_version:
      - 2
      - 0
    .max_flat_workgroup_size: 128
    .name:           _Z30block_run_length_decode_kernelIdxLj128ELj2ELj4ELj100EEvPKT_PKT0_PS0_b
    .private_segment_fixed_size: 0
    .sgpr_count:     13
    .sgpr_spill_count: 0
    .symbol:         _Z30block_run_length_decode_kernelIdxLj128ELj2ELj4ELj100EEvPKT_PKT0_PS0_b.kd
    .uniform_work_group_size: 1
    .uses_dynamic_stack: false
    .vgpr_count:     18
    .vgpr_spill_count: 0
    .wavefront_size: 32
amdhsa.target:   amdgcn-amd-amdhsa--gfx1250
amdhsa.version:
  - 1
  - 2
...

	.end_amdgpu_metadata
